;; amdgpu-corpus repo=zjin-lcf/HeCBench kind=compiled arch=gfx1100 opt=O3
	.text
	.amdgcn_target "amdgcn-amd-amdhsa--gfx1100"
	.amdhsa_code_object_version 6
	.protected	_Z7kernel1PiPKiiiiii    ; -- Begin function _Z7kernel1PiPKiiiiii
	.globl	_Z7kernel1PiPKiiiiii
	.p2align	8
	.type	_Z7kernel1PiPKiiiiii,@function
_Z7kernel1PiPKiiiiii:                   ; @_Z7kernel1PiPKiiiiii
; %bb.0:
	s_load_b256 s[16:23], s[0:1], 0x0
	s_not_b32 s2, s15
	s_load_b32 s33, s[0:1], 0x20
	s_lshl_b32 s1, s15, 4
	v_cmp_eq_u32_e32 vcc_lo, 0, v0
	s_waitcnt lgkmcnt(0)
	s_add_i32 s2, s2, s23
	s_add_i32 s1, s1, s21
	s_lshl_b32 s2, s2, 4
	s_delay_alu instid0(SALU_CYCLE_1) | instskip(NEXT) | instid1(SALU_CYCLE_1)
	s_add_i32 s0, s2, s20
	s_mul_i32 s0, s0, s22
	s_delay_alu instid0(SALU_CYCLE_1) | instskip(NEXT) | instid1(SALU_CYCLE_1)
	s_add_i32 s2, s1, s0
	v_add_nc_u32_e32 v1, s2, v0
	s_delay_alu instid0(VALU_DEP_1) | instskip(NEXT) | instid1(VALU_DEP_1)
	v_ashrrev_i32_e32 v2, 31, v1
	v_lshlrev_b64 v[3:4], 2, v[1:2]
	s_and_saveexec_b32 s1, vcc_lo
	s_cbranch_execz .LBB0_2
; %bb.1:
	s_delay_alu instid0(VALU_DEP_1) | instskip(NEXT) | instid1(VALU_DEP_1)
	v_add_co_u32 v5, s0, s16, v3
	v_add_co_ci_u32_e64 v6, s0, s17, v4, s0
	global_load_b32 v5, v[5:6], off
	v_mov_b32_e32 v6, 0
	s_waitcnt vmcnt(0)
	ds_store_b32 v6, v5
.LBB0_2:
	s_or_b32 exec_lo, exec_lo, s1
	s_ashr_i32 s23, s22, 31
	v_add_co_u32 v1, s0, s22, v1
	s_delay_alu instid0(VALU_DEP_1) | instskip(SKIP_3) | instid1(VALU_DEP_1)
	v_add_co_ci_u32_e64 v2, s0, s23, v2, s0
	s_lshl_b32 s24, s22, 1
	s_lshl_b64 s[20:21], s[22:23], 2
	s_ashr_i32 s25, s24, 31
	v_lshlrev_b64 v[5:6], 2, v[1:2]
	s_lshl_b64 s[4:5], s[24:25], 2
	s_mul_i32 s26, s22, 3
	s_mul_i32 s28, s22, 5
	s_ashr_i32 s27, s26, 31
	s_ashr_i32 s29, s28, 31
	v_add_co_u32 v5, s0, s18, v5
	s_delay_alu instid0(VALU_DEP_1) | instskip(SKIP_1) | instid1(VALU_DEP_2)
	v_add_co_ci_u32_e64 v6, s0, s19, v6, s0
	s_lshl_b32 s18, s22, 2
	v_add_co_u32 v7, s0, v5, s20
	s_delay_alu instid0(VALU_DEP_1) | instskip(SKIP_1) | instid1(VALU_DEP_1)
	v_add_co_ci_u32_e64 v8, s0, s21, v6, s0
	v_add_co_u32 v9, s0, v5, s4
	v_add_co_ci_u32_e64 v10, s0, s5, v6, s0
	s_lshl_b64 s[0:1], s[26:27], 2
	s_ashr_i32 s19, s18, 31
	v_add_co_u32 v11, s0, v5, s0
	s_delay_alu instid0(VALU_DEP_1) | instskip(SKIP_3) | instid1(VALU_DEP_1)
	v_add_co_ci_u32_e64 v12, s0, s1, v6, s0
	s_lshl_b64 s[0:1], s[18:19], 2
	s_mul_i32 s30, s22, 6
	v_add_co_u32 v13, s0, v5, s0
	v_add_co_ci_u32_e64 v14, s0, s1, v6, s0
	s_lshl_b64 s[0:1], s[28:29], 2
	s_ashr_i32 s31, s30, 31
	v_add_co_u32 v15, s0, v5, s0
	s_delay_alu instid0(VALU_DEP_1)
	v_add_co_ci_u32_e64 v16, s0, s1, v6, s0
	s_lshl_b64 s[0:1], s[30:31], 2
	s_mul_i32 s34, s22, 7
	v_add_co_u32 v17, s0, v5, s0
	s_ashr_i32 s35, s34, 31
	v_add_co_ci_u32_e64 v18, s0, s1, v6, s0
	s_lshl_b64 s[0:1], s[34:35], 2
	s_lshl_b32 s36, s22, 3
	v_add_co_u32 v19, s0, v5, s0
	s_ashr_i32 s37, s36, 31
	v_add_co_ci_u32_e64 v20, s0, s1, v6, s0
	s_lshl_b64 s[0:1], s[36:37], 2
	s_mul_i32 s38, s22, 9
	s_clause 0x7
	global_load_b32 v23, v[5:6], off offset:4
	global_load_b32 v24, v[7:8], off offset:4
	;; [unrolled: 1-line block ×8, first 2 shown]
	v_add_co_u32 v7, s0, v5, s0
	s_ashr_i32 s39, s38, 31
	v_add_co_ci_u32_e64 v8, s0, s1, v6, s0
	s_lshl_b64 s[0:1], s[38:39], 2
	s_mul_i32 s40, s22, 10
	v_add_co_u32 v9, s0, v5, s0
	s_ashr_i32 s41, s40, 31
	v_add_co_ci_u32_e64 v10, s0, s1, v6, s0
	s_lshl_b64 s[0:1], s[40:41], 2
	s_mul_i32 s42, s22, 11
	;; [unrolled: 5-line block ×3, first 2 shown]
	v_add_nc_u32_e32 v31, 1, v0
	v_add_co_u32 v13, s0, v5, s0
	s_ashr_i32 s45, s44, 31
	v_add_co_ci_u32_e64 v14, s0, s1, v6, s0
	s_lshl_b64 s[0:1], s[44:45], 2
	s_mul_i32 s46, s22, 13
	v_mad_u64_u32 v[17:18], null, v31, s22, s[2:3]
	v_add_co_u32 v15, s0, v5, s0
	s_ashr_i32 s47, s46, 31
	v_add_co_ci_u32_e64 v16, s0, s1, v6, s0
	s_lshl_b64 s[0:1], s[46:47], 2
	s_mul_i32 s48, s22, 14
	v_add_co_u32 v19, s0, v5, s0
	s_ashr_i32 s49, s48, 31
	v_add_co_ci_u32_e64 v20, s0, s1, v6, s0
	v_ashrrev_i32_e32 v18, 31, v17
	s_lshl_b64 s[0:1], s[48:49], 2
	s_mul_i32 s22, s22, 15
	v_add_co_u32 v21, s0, v5, s0
	s_ashr_i32 s23, s22, 31
	v_add_co_ci_u32_e64 v22, s0, s1, v6, s0
	v_lshlrev_b64 v[17:18], 2, v[17:18]
	s_lshl_b64 s[0:1], s[22:23], 2
	s_delay_alu instid0(SALU_CYCLE_1) | instskip(NEXT) | instid1(VALU_DEP_1)
	v_add_co_u32 v5, s0, v5, s0
	v_add_co_ci_u32_e64 v6, s0, s1, v6, s0
	s_delay_alu instid0(VALU_DEP_3) | instskip(NEXT) | instid1(VALU_DEP_1)
	v_add_co_u32 v17, s0, s16, v17
	v_add_co_ci_u32_e64 v18, s0, s17, v18, s0
	v_add_co_u32 v3, s0, s16, v3
	s_delay_alu instid0(VALU_DEP_1)
	v_add_co_ci_u32_e64 v4, s0, s17, v4, s0
	s_clause 0x7
	global_load_b32 v7, v[7:8], off offset:4
	global_load_b32 v8, v[9:10], off offset:4
	;; [unrolled: 1-line block ×8, first 2 shown]
	s_clause 0x1
	global_load_b32 v15, v[17:18], off
	global_load_b32 v16, v[3:4], off offset:4
	v_lshlrev_b32_e32 v5, 2, v0
	v_mul_u32_u24_e32 v17, 17, v31
	s_delay_alu instid0(VALU_DEP_2) | instskip(SKIP_2) | instid1(VALU_DEP_4)
	v_add_nc_u32_e32 v18, 0x400, v5
	v_add_nc_u32_e32 v6, 0x490, v5
	;; [unrolled: 1-line block ×3, first 2 shown]
	v_lshlrev_b32_e32 v17, 2, v17
	s_waitcnt vmcnt(16)
	ds_store_2addr_b32 v18, v23, v24 offset0:36 offset1:52
	s_waitcnt vmcnt(14)
	ds_store_2addr_b32 v18, v25, v26 offset0:68 offset1:84
	;; [unrolled: 2-line block ×8, first 2 shown]
	s_waitcnt vmcnt(1)
	ds_store_b32 v17, v15
	s_waitcnt vmcnt(0)
	ds_store_b32 v5, v16 offset:4
	s_waitcnt lgkmcnt(0)
	s_barrier
	buffer_gl0_inv
	s_and_saveexec_b32 s0, vcc_lo
	s_cbranch_execz .LBB0_4
; %bb.3:
	v_mov_b32_e32 v9, 0
	ds_load_b32 v10, v9 offset:68
	ds_load_2addr_b32 v[7:8], v5 offset1:1
	ds_load_b32 v11, v6
	s_waitcnt lgkmcnt(2)
	v_subrev_nc_u32_e32 v10, s33, v10
	s_waitcnt lgkmcnt(1)
	v_subrev_nc_u32_e32 v8, s33, v8
	s_waitcnt lgkmcnt(0)
	v_add_nc_u32_e32 v7, v11, v7
	s_delay_alu instid0(VALU_DEP_1)
	v_max3_i32 v7, v7, v10, v8
	ds_store_b32 v9, v7 offset:72
.LBB0_4:
	s_or_b32 exec_lo, exec_lo, s0
	v_add_nc_u32_e32 v7, 4, v5
	v_cmp_gt_u32_e64 s0, 2, v0
	s_waitcnt lgkmcnt(0)
	s_barrier
	buffer_gl0_inv
	s_and_saveexec_b32 s1, s0
	s_cbranch_execz .LBB0_6
; %bb.5:
	v_sub_nc_u32_e32 v8, 1, v0
	s_delay_alu instid0(VALU_DEP_1) | instskip(SKIP_1) | instid1(VALU_DEP_2)
	v_mul_u32_u24_e32 v9, 17, v8
	v_lshl_or_b32 v12, v8, 6, v5
	v_lshlrev_b32_e32 v10, 2, v9
	s_delay_alu instid0(VALU_DEP_1)
	v_add_nc_u32_e32 v11, v5, v10
	ds_load_2addr_b32 v[8:9], v11 offset1:1
	ds_load_b32 v12, v12 offset:1168
	ds_load_b32 v11, v11 offset:68
	s_waitcnt lgkmcnt(2)
	v_subrev_nc_u32_e32 v9, s33, v9
	s_waitcnt lgkmcnt(1)
	v_add_nc_u32_e32 v8, v12, v8
	s_waitcnt lgkmcnt(0)
	v_subrev_nc_u32_e32 v11, s33, v11
	s_delay_alu instid0(VALU_DEP_1)
	v_max3_i32 v8, v8, v11, v9
	v_add_nc_u32_e32 v9, v7, v10
	ds_store_b32 v9, v8 offset:68
.LBB0_6:
	s_or_b32 exec_lo, exec_lo, s1
	v_cmp_gt_u32_e64 s1, 3, v0
	s_waitcnt lgkmcnt(0)
	s_barrier
	buffer_gl0_inv
	s_and_saveexec_b32 s2, s1
	s_cbranch_execz .LBB0_8
; %bb.7:
	v_sub_nc_u32_e32 v8, 2, v0
	s_delay_alu instid0(VALU_DEP_1) | instskip(SKIP_1) | instid1(VALU_DEP_2)
	v_mul_u32_u24_e32 v9, 17, v8
	v_lshl_or_b32 v12, v8, 6, v5
	v_lshlrev_b32_e32 v10, 2, v9
	s_delay_alu instid0(VALU_DEP_1)
	v_add_nc_u32_e32 v11, v5, v10
	ds_load_2addr_b32 v[8:9], v11 offset1:1
	ds_load_b32 v12, v12 offset:1168
	ds_load_b32 v11, v11 offset:68
	s_waitcnt lgkmcnt(2)
	v_subrev_nc_u32_e32 v9, s33, v9
	s_waitcnt lgkmcnt(1)
	v_add_nc_u32_e32 v8, v12, v8
	s_waitcnt lgkmcnt(0)
	v_subrev_nc_u32_e32 v11, s33, v11
	s_delay_alu instid0(VALU_DEP_1)
	v_max3_i32 v8, v8, v11, v9
	v_add_nc_u32_e32 v9, v7, v10
	ds_store_b32 v9, v8 offset:68
.LBB0_8:
	s_or_b32 exec_lo, exec_lo, s2
	;; [unrolled: 29-line block ×14, first 2 shown]
	v_sub_nc_u32_e32 v11, 15, v0
	v_cmp_gt_u32_e64 s14, 16, v0
	s_waitcnt lgkmcnt(0)
	s_barrier
	buffer_gl0_inv
	v_mul_i32_i24_e32 v10, 17, v11
	v_lshlrev_b32_e32 v9, 4, v11
	s_delay_alu instid0(VALU_DEP_2) | instskip(SKIP_1) | instid1(SALU_CYCLE_1)
	v_lshlrev_b32_e32 v8, 2, v10
	s_and_saveexec_b32 s15, s14
	s_xor_b32 s14, exec_lo, s15
	s_cbranch_execz .LBB0_34
; %bb.33:
	v_lshlrev_b32_e32 v9, 4, v11
	v_add_nc_u32_e32 v13, v5, v8
	v_add_nc_u32_e32 v7, v7, v8
	s_delay_alu instid0(VALU_DEP_3) | instskip(NEXT) | instid1(VALU_DEP_1)
	v_or_b32_e32 v11, v9, v0
	v_lshlrev_b32_e32 v14, 2, v11
	ds_load_2addr_b32 v[11:12], v13 offset1:1
	ds_load_b32 v14, v14 offset:1168
	ds_load_b32 v13, v13 offset:68
	s_waitcnt lgkmcnt(2)
	v_subrev_nc_u32_e32 v12, s33, v12
	s_waitcnt lgkmcnt(1)
	v_add_nc_u32_e32 v11, v14, v11
	s_waitcnt lgkmcnt(0)
	v_subrev_nc_u32_e32 v13, s33, v13
	s_delay_alu instid0(VALU_DEP_1)
	v_max3_i32 v11, v11, v13, v12
	ds_store_b32 v7, v11 offset:68
.LBB0_34:
	s_and_not1_saveexec_b32 s14, s14
	s_delay_alu instid0(SALU_CYCLE_1)
	s_or_b32 exec_lo, exec_lo, s14
	v_sub_nc_u32_e32 v0, 16, v0
	v_lshl_add_u32 v7, v10, 2, v5
	v_lshl_add_u32 v10, v9, 2, v6
	s_waitcnt lgkmcnt(0)
	s_barrier
	v_mul_i32_i24_e32 v0, 17, v0
	buffer_gl0_inv
	v_lshl_add_u32 v6, v0, 2, v5
	s_and_saveexec_b32 s14, s13
	s_cbranch_execz .LBB0_36
; %bb.35:
	ds_load_2addr_b32 v[11:12], v7 offset0:1 offset1:2
	ds_load_b32 v13, v10 offset:4
	ds_load_b32 v14, v6 offset:4
	s_waitcnt lgkmcnt(2)
	v_subrev_nc_u32_e32 v12, s33, v12
	s_waitcnt lgkmcnt(1)
	v_add_nc_u32_e32 v11, v13, v11
	s_waitcnt lgkmcnt(0)
	v_subrev_nc_u32_e32 v13, s33, v14
	s_delay_alu instid0(VALU_DEP_1)
	v_max3_i32 v11, v11, v13, v12
	ds_store_b32 v6, v11 offset:8
.LBB0_36:
	s_or_b32 exec_lo, exec_lo, s14
	s_waitcnt lgkmcnt(0)
	s_barrier
	buffer_gl0_inv
	s_and_saveexec_b32 s13, s12
	s_cbranch_execz .LBB0_38
; %bb.37:
	ds_load_2addr_b32 v[11:12], v7 offset0:2 offset1:3
	ds_load_b32 v13, v10 offset:8
	ds_load_b32 v14, v6 offset:8
	s_waitcnt lgkmcnt(2)
	v_subrev_nc_u32_e32 v12, s33, v12
	s_waitcnt lgkmcnt(1)
	v_add_nc_u32_e32 v11, v13, v11
	s_waitcnt lgkmcnt(0)
	v_subrev_nc_u32_e32 v13, s33, v14
	s_delay_alu instid0(VALU_DEP_1)
	v_max3_i32 v11, v11, v13, v12
	ds_store_b32 v6, v11 offset:12
.LBB0_38:
	s_or_b32 exec_lo, exec_lo, s13
	s_waitcnt lgkmcnt(0)
	s_barrier
	buffer_gl0_inv
	;; [unrolled: 20-line block ×13, first 2 shown]
	s_and_saveexec_b32 s1, s0
	s_cbranch_execz .LBB0_62
; %bb.61:
	ds_load_2addr_b32 v[11:12], v7 offset0:14 offset1:15
	ds_load_b32 v7, v10 offset:56
	ds_load_b32 v10, v6 offset:56
	s_waitcnt lgkmcnt(1)
	v_add_nc_u32_e32 v7, v7, v11
	s_waitcnt lgkmcnt(0)
	v_subrev_nc_u32_e32 v10, s33, v10
	v_subrev_nc_u32_e32 v11, s33, v12
	s_delay_alu instid0(VALU_DEP_1)
	v_max3_i32 v7, v7, v10, v11
	ds_store_b32 v6, v7 offset:60
.LBB0_62:
	s_or_b32 exec_lo, exec_lo, s1
	s_waitcnt lgkmcnt(0)
	s_barrier
	buffer_gl0_inv
	s_and_saveexec_b32 s0, vcc_lo
	s_cbranch_execz .LBB0_64
; %bb.63:
	v_dual_mov_b32 v10, 0 :: v_dual_lshlrev_b32 v9, 2, v9
	v_lshlrev_b32_e32 v0, 2, v0
	ds_load_2addr_b32 v[6:7], v8 offset0:15 offset1:16
	ds_load_b32 v8, v9 offset:1228
	ds_load_b32 v9, v10 offset:1148
	s_waitcnt lgkmcnt(2)
	v_subrev_nc_u32_e32 v7, s33, v7
	s_waitcnt lgkmcnt(1)
	v_add_nc_u32_e32 v6, v8, v6
	s_waitcnt lgkmcnt(0)
	v_subrev_nc_u32_e32 v8, s33, v9
	s_delay_alu instid0(VALU_DEP_1)
	v_max3_i32 v6, v6, v8, v7
	ds_store_b32 v0, v6 offset:64
.LBB0_64:
	s_or_b32 exec_lo, exec_lo, s0
	v_add_co_u32 v6, vcc_lo, s24, v1
	v_add_co_ci_u32_e32 v7, vcc_lo, s25, v2, vcc_lo
	v_add_co_u32 v8, vcc_lo, s26, v1
	v_add_co_ci_u32_e32 v9, vcc_lo, s27, v2, vcc_lo
	;; [unrolled: 2-line block ×11, first 2 shown]
	v_add_co_u32 v28, vcc_lo, s46, v1
	s_waitcnt lgkmcnt(0)
	s_barrier
	buffer_gl0_inv
	ds_load_2addr_b32 v[30:31], v5 offset0:18 offset1:35
	ds_load_2addr_b32 v[34:35], v5 offset0:52 offset1:69
	v_add_co_ci_u32_e32 v29, vcc_lo, s47, v2, vcc_lo
	v_add_co_u32 v32, vcc_lo, s48, v1
	v_add_co_ci_u32_e32 v33, vcc_lo, s49, v2, vcc_lo
	v_add_co_u32 v3, vcc_lo, v3, s20
	v_add_co_ci_u32_e32 v4, vcc_lo, s21, v4, vcc_lo
	v_lshlrev_b64 v[6:7], 2, v[6:7]
	s_delay_alu instid0(VALU_DEP_3) | instskip(NEXT) | instid1(VALU_DEP_3)
	v_add_co_u32 v36, vcc_lo, v3, s20
	v_add_co_ci_u32_e32 v37, vcc_lo, s21, v4, vcc_lo
	s_waitcnt lgkmcnt(1)
	s_clause 0x1
	global_store_b32 v[3:4], v30, off offset:4
	global_store_b32 v[36:37], v31, off offset:4
	v_add_co_u32 v6, vcc_lo, s16, v6
	v_add_co_ci_u32_e32 v7, vcc_lo, s17, v7, vcc_lo
	v_add_co_u32 v0, vcc_lo, s22, v1
	v_add_co_ci_u32_e32 v1, vcc_lo, s23, v2, vcc_lo
	s_waitcnt lgkmcnt(0)
	global_store_b32 v[6:7], v34, off offset:4
	ds_load_2addr_b32 v[6:7], v5 offset0:86 offset1:103
	v_lshlrev_b64 v[2:3], 2, v[8:9]
	v_lshlrev_b64 v[8:9], 2, v[10:11]
	ds_load_2addr_b32 v[10:11], v5 offset0:120 offset1:137
	v_lshlrev_b64 v[12:13], 2, v[12:13]
	v_lshlrev_b64 v[14:15], 2, v[14:15]
	;; [unrolled: 1-line block ×3, first 2 shown]
	v_add_co_u32 v2, vcc_lo, s16, v2
	v_add_co_ci_u32_e32 v3, vcc_lo, s17, v3, vcc_lo
	v_add_co_u32 v8, vcc_lo, s16, v8
	v_add_co_ci_u32_e32 v9, vcc_lo, s17, v9, vcc_lo
	;; [unrolled: 2-line block ×3, first 2 shown]
	v_add_co_u32 v14, vcc_lo, s16, v14
	global_store_b32 v[2:3], v35, off offset:4
	s_waitcnt lgkmcnt(1)
	s_clause 0x1
	global_store_b32 v[8:9], v6, off offset:4
	global_store_b32 v[12:13], v7, off offset:4
	v_lshlrev_b64 v[2:3], 2, v[16:17]
	v_add_co_ci_u32_e32 v15, vcc_lo, s17, v15, vcc_lo
	ds_load_2addr_b32 v[6:7], v5 offset0:154 offset1:171
	ds_load_2addr_b32 v[12:13], v5 offset0:188 offset1:205
	v_lshlrev_b64 v[8:9], 2, v[18:19]
	s_waitcnt lgkmcnt(2)
	global_store_b32 v[14:15], v10, off offset:4
	v_add_co_u32 v2, vcc_lo, s16, v2
	v_lshlrev_b64 v[14:15], 2, v[20:21]
	v_add_co_ci_u32_e32 v3, vcc_lo, s17, v3, vcc_lo
	v_add_co_u32 v8, vcc_lo, s16, v8
	v_lshlrev_b64 v[16:17], 2, v[22:23]
	v_add_co_ci_u32_e32 v9, vcc_lo, s17, v9, vcc_lo
	v_add_co_u32 v14, vcc_lo, s16, v14
	v_add_co_ci_u32_e32 v15, vcc_lo, s17, v15, vcc_lo
	s_delay_alu instid0(VALU_DEP_4)
	v_add_co_u32 v16, vcc_lo, s16, v16
	v_add_co_ci_u32_e32 v17, vcc_lo, s17, v17, vcc_lo
	v_add_nc_u32_e32 v10, 0x400, v5
	global_store_b32 v[2:3], v11, off offset:4
	s_waitcnt lgkmcnt(1)
	global_store_b32 v[8:9], v6, off offset:4
	v_lshlrev_b64 v[2:3], 2, v[24:25]
	global_store_b32 v[14:15], v7, off offset:4
	s_waitcnt lgkmcnt(0)
	global_store_b32 v[16:17], v12, off offset:4
	ds_load_2addr_b32 v[4:5], v5 offset0:222 offset1:239
	v_lshlrev_b64 v[6:7], 2, v[26:27]
	ds_load_2addr_b32 v[10:11], v10 offset1:17
	v_lshlrev_b64 v[8:9], 2, v[28:29]
	v_add_co_u32 v2, vcc_lo, s16, v2
	v_add_co_ci_u32_e32 v3, vcc_lo, s17, v3, vcc_lo
	v_add_co_u32 v6, vcc_lo, s16, v6
	v_lshlrev_b64 v[14:15], 2, v[32:33]
	v_add_co_ci_u32_e32 v7, vcc_lo, s17, v7, vcc_lo
	v_add_co_u32 v8, vcc_lo, s16, v8
	v_add_co_ci_u32_e32 v9, vcc_lo, s17, v9, vcc_lo
	s_delay_alu instid0(VALU_DEP_4)
	v_add_co_u32 v14, vcc_lo, s16, v14
	v_add_co_ci_u32_e32 v15, vcc_lo, s17, v15, vcc_lo
	v_add_co_u32 v0, vcc_lo, s16, v0
	v_add_co_ci_u32_e32 v1, vcc_lo, s17, v1, vcc_lo
	global_store_b32 v[2:3], v13, off offset:4
	s_waitcnt lgkmcnt(1)
	s_clause 0x1
	global_store_b32 v[6:7], v4, off offset:4
	global_store_b32 v[8:9], v5, off offset:4
	s_waitcnt lgkmcnt(0)
	s_clause 0x1
	global_store_b32 v[14:15], v10, off offset:4
	global_store_b32 v[0:1], v11, off offset:4
	s_nop 0
	s_sendmsg sendmsg(MSG_DEALLOC_VGPRS)
	s_endpgm
	.section	.rodata,"a",@progbits
	.p2align	6, 0x0
	.amdhsa_kernel _Z7kernel1PiPKiiiiii
		.amdhsa_group_segment_fixed_size 2192
		.amdhsa_private_segment_fixed_size 0
		.amdhsa_kernarg_size 36
		.amdhsa_user_sgpr_count 15
		.amdhsa_user_sgpr_dispatch_ptr 0
		.amdhsa_user_sgpr_queue_ptr 0
		.amdhsa_user_sgpr_kernarg_segment_ptr 1
		.amdhsa_user_sgpr_dispatch_id 0
		.amdhsa_user_sgpr_private_segment_size 0
		.amdhsa_wavefront_size32 1
		.amdhsa_uses_dynamic_stack 0
		.amdhsa_enable_private_segment 0
		.amdhsa_system_sgpr_workgroup_id_x 1
		.amdhsa_system_sgpr_workgroup_id_y 0
		.amdhsa_system_sgpr_workgroup_id_z 0
		.amdhsa_system_sgpr_workgroup_info 0
		.amdhsa_system_vgpr_workitem_id 0
		.amdhsa_next_free_vgpr 38
		.amdhsa_next_free_sgpr 50
		.amdhsa_reserve_vcc 1
		.amdhsa_float_round_mode_32 0
		.amdhsa_float_round_mode_16_64 0
		.amdhsa_float_denorm_mode_32 3
		.amdhsa_float_denorm_mode_16_64 3
		.amdhsa_dx10_clamp 1
		.amdhsa_ieee_mode 1
		.amdhsa_fp16_overflow 0
		.amdhsa_workgroup_processor_mode 1
		.amdhsa_memory_ordered 1
		.amdhsa_forward_progress 0
		.amdhsa_shared_vgpr_count 0
		.amdhsa_exception_fp_ieee_invalid_op 0
		.amdhsa_exception_fp_denorm_src 0
		.amdhsa_exception_fp_ieee_div_zero 0
		.amdhsa_exception_fp_ieee_overflow 0
		.amdhsa_exception_fp_ieee_underflow 0
		.amdhsa_exception_fp_ieee_inexact 0
		.amdhsa_exception_int_div_zero 0
	.end_amdhsa_kernel
	.text
.Lfunc_end0:
	.size	_Z7kernel1PiPKiiiiii, .Lfunc_end0-_Z7kernel1PiPKiiiiii
                                        ; -- End function
	.section	.AMDGPU.csdata,"",@progbits
; Kernel info:
; codeLenInByte = 5464
; NumSgprs: 52
; NumVgprs: 38
; ScratchSize: 0
; MemoryBound: 0
; FloatMode: 240
; IeeeMode: 1
; LDSByteSize: 2192 bytes/workgroup (compile time only)
; SGPRBlocks: 6
; VGPRBlocks: 4
; NumSGPRsForWavesPerEU: 52
; NumVGPRsForWavesPerEU: 38
; Occupancy: 16
; WaveLimiterHint : 0
; COMPUTE_PGM_RSRC2:SCRATCH_EN: 0
; COMPUTE_PGM_RSRC2:USER_SGPR: 15
; COMPUTE_PGM_RSRC2:TRAP_HANDLER: 0
; COMPUTE_PGM_RSRC2:TGID_X_EN: 1
; COMPUTE_PGM_RSRC2:TGID_Y_EN: 0
; COMPUTE_PGM_RSRC2:TGID_Z_EN: 0
; COMPUTE_PGM_RSRC2:TIDIG_COMP_CNT: 0
	.text
	.protected	_Z7kernel2PiPKiiiiiii   ; -- Begin function _Z7kernel2PiPKiiiiiii
	.globl	_Z7kernel2PiPKiiiiiii
	.p2align	8
	.type	_Z7kernel2PiPKiiiiiii,@function
_Z7kernel2PiPKiiiiiii:                  ; @_Z7kernel2PiPKiiiiiii
; %bb.0:
	s_clause 0x1
	s_load_b256 s[16:23], s[0:1], 0x0
	s_load_b64 s[24:25], s[0:1], 0x20
	s_not_b32 s0, s15
	v_cmp_eq_u32_e32 vcc_lo, 0, v0
	s_waitcnt lgkmcnt(0)
	s_add_i32 s0, s0, s20
	s_add_i32 s15, s15, s20
	s_lshl_b32 s0, s0, 4
	s_sub_i32 s1, s15, s24
	s_add_i32 s0, s0, s21
	s_lshl_b32 s1, s1, 4
	s_mul_i32 s0, s0, s23
	s_add_i32 s1, s1, s22
	s_delay_alu instid0(SALU_CYCLE_1)
	s_add_i32 s2, s1, s0
	s_and_saveexec_b32 s0, vcc_lo
	s_cbranch_execz .LBB1_2
; %bb.1:
	s_ashr_i32 s3, s2, 31
	s_delay_alu instid0(SALU_CYCLE_1) | instskip(NEXT) | instid1(SALU_CYCLE_1)
	s_lshl_b64 s[4:5], s[2:3], 2
	s_add_u32 s4, s16, s4
	s_addc_u32 s5, s17, s5
	s_load_b32 s1, s[4:5], 0x0
	s_waitcnt lgkmcnt(0)
	v_dual_mov_b32 v1, 0 :: v_dual_mov_b32 v2, s1
	ds_store_b32 v1, v2
.LBB1_2:
	s_or_b32 exec_lo, exec_lo, s0
	v_add_nc_u32_e32 v3, s2, v0
	s_ashr_i32 s1, s23, 31
	s_lshl_b32 s26, s23, 1
	s_mul_i32 s28, s23, 3
	s_ashr_i32 s27, s26, 31
	v_ashrrev_i32_e32 v4, 31, v3
	v_add_co_u32 v1, s0, s23, v3
	s_lshl_b64 s[4:5], s[26:27], 2
	s_ashr_i32 s29, s28, 31
	s_delay_alu instid0(VALU_DEP_2) | instskip(SKIP_3) | instid1(VALU_DEP_1)
	v_add_co_ci_u32_e64 v2, s0, s1, v4, s0
	s_mov_b32 s0, s23
	s_mul_i32 s30, s23, 5
	s_lshl_b64 s[20:21], s[0:1], 2
	v_lshlrev_b64 v[5:6], 2, v[1:2]
	s_ashr_i32 s31, s30, 31
	s_mul_i32 s34, s23, 6
	s_mul_i32 s36, s23, 7
	s_ashr_i32 s35, s34, 31
	s_ashr_i32 s37, s36, 31
	v_add_co_u32 v5, s0, s18, v5
	s_delay_alu instid0(VALU_DEP_1) | instskip(SKIP_1) | instid1(VALU_DEP_2)
	v_add_co_ci_u32_e64 v6, s0, s19, v6, s0
	s_lshl_b32 s18, s23, 2
	v_add_co_u32 v7, s0, v5, s20
	s_delay_alu instid0(VALU_DEP_1) | instskip(SKIP_1) | instid1(VALU_DEP_1)
	v_add_co_ci_u32_e64 v8, s0, s21, v6, s0
	v_add_co_u32 v9, s0, v5, s4
	v_add_co_ci_u32_e64 v10, s0, s5, v6, s0
	s_lshl_b64 s[0:1], s[28:29], 2
	s_ashr_i32 s19, s18, 31
	v_add_co_u32 v11, s0, v5, s0
	s_delay_alu instid0(VALU_DEP_1) | instskip(SKIP_3) | instid1(VALU_DEP_1)
	v_add_co_ci_u32_e64 v12, s0, s1, v6, s0
	s_lshl_b64 s[0:1], s[18:19], 2
	s_lshl_b32 s38, s23, 3
	v_add_co_u32 v13, s0, v5, s0
	v_add_co_ci_u32_e64 v14, s0, s1, v6, s0
	s_lshl_b64 s[0:1], s[30:31], 2
	s_ashr_i32 s39, s38, 31
	v_add_co_u32 v15, s0, v5, s0
	s_delay_alu instid0(VALU_DEP_1) | instskip(SKIP_3) | instid1(VALU_DEP_1)
	v_add_co_ci_u32_e64 v16, s0, s1, v6, s0
	s_lshl_b64 s[0:1], s[34:35], 2
	s_mul_i32 s40, s23, 9
	v_add_co_u32 v17, s0, v5, s0
	v_add_co_ci_u32_e64 v18, s0, s1, v6, s0
	s_lshl_b64 s[0:1], s[36:37], 2
	s_ashr_i32 s41, s40, 31
	v_add_co_u32 v19, s0, v5, s0
	s_delay_alu instid0(VALU_DEP_1)
	v_add_co_ci_u32_e64 v20, s0, s1, v6, s0
	s_lshl_b64 s[0:1], s[38:39], 2
	s_clause 0x7
	global_load_b32 v23, v[5:6], off offset:4
	global_load_b32 v24, v[7:8], off offset:4
	;; [unrolled: 1-line block ×8, first 2 shown]
	v_add_co_u32 v7, s0, v5, s0
	s_delay_alu instid0(VALU_DEP_1)
	v_add_co_ci_u32_e64 v8, s0, s1, v6, s0
	s_lshl_b64 s[0:1], s[40:41], 2
	s_mul_i32 s42, s23, 10
	v_add_co_u32 v9, s0, v5, s0
	s_ashr_i32 s43, s42, 31
	v_add_co_ci_u32_e64 v10, s0, s1, v6, s0
	s_lshl_b64 s[0:1], s[42:43], 2
	s_mul_i32 s44, s23, 11
	v_add_nc_u32_e32 v31, 1, v0
	v_add_co_u32 v11, s0, v5, s0
	s_ashr_i32 s45, s44, 31
	v_add_co_ci_u32_e64 v12, s0, s1, v6, s0
	s_lshl_b64 s[0:1], s[44:45], 2
	s_mul_i32 s46, s23, 12
	v_mad_u64_u32 v[15:16], null, v31, s23, s[2:3]
	v_add_co_u32 v13, s0, v5, s0
	s_ashr_i32 s47, s46, 31
	v_add_co_ci_u32_e64 v14, s0, s1, v6, s0
	s_lshl_b64 s[0:1], s[46:47], 2
	s_mul_i32 s50, s23, 13
	v_add_co_u32 v17, s0, v5, s0
	s_ashr_i32 s51, s50, 31
	v_add_co_ci_u32_e64 v18, s0, s1, v6, s0
	v_ashrrev_i32_e32 v16, 31, v15
	s_lshl_b64 s[0:1], s[50:51], 2
	s_mul_i32 s48, s23, 14
	v_add_co_u32 v19, s0, v5, s0
	s_ashr_i32 s49, s48, 31
	v_add_co_ci_u32_e64 v20, s0, s1, v6, s0
	v_lshlrev_b64 v[15:16], 2, v[15:16]
	s_lshl_b64 s[0:1], s[48:49], 2
	v_lshlrev_b64 v[3:4], 2, v[3:4]
	v_add_co_u32 v21, s0, v5, s0
	s_delay_alu instid0(VALU_DEP_1) | instskip(NEXT) | instid1(VALU_DEP_4)
	v_add_co_ci_u32_e64 v22, s0, s1, v6, s0
	v_add_co_u32 v15, s0, s16, v15
	s_mul_i32 s22, s23, 15
	v_add_co_ci_u32_e64 v16, s0, s17, v16, s0
	s_ashr_i32 s23, s22, 31
	v_add_co_u32 v3, s0, s16, v3
	s_lshl_b64 s[2:3], s[22:23], 2
	v_add_co_ci_u32_e64 v4, s0, s17, v4, s0
	v_add_co_u32 v5, s0, v5, s2
	s_delay_alu instid0(VALU_DEP_1)
	v_add_co_ci_u32_e64 v6, s0, s3, v6, s0
	s_clause 0x1
	global_load_b32 v15, v[15:16], off
	global_load_b32 v16, v[3:4], off offset:4
	s_clause 0x7
	global_load_b32 v7, v[7:8], off offset:4
	global_load_b32 v8, v[9:10], off offset:4
	;; [unrolled: 1-line block ×8, first 2 shown]
	v_mul_u32_u24_e32 v6, 17, v31
	v_lshlrev_b32_e32 v5, 2, v0
	s_delay_alu instid0(VALU_DEP_2) | instskip(NEXT) | instid1(VALU_DEP_2)
	v_lshlrev_b32_e32 v17, 2, v6
	v_add_nc_u32_e32 v6, 0x490, v5
	v_add_nc_u32_e32 v18, 0x400, v5
	;; [unrolled: 1-line block ×3, first 2 shown]
	s_waitcnt vmcnt(9)
	ds_store_b32 v17, v15
	s_waitcnt vmcnt(8)
	ds_store_b32 v5, v16 offset:4
	ds_store_2addr_b32 v18, v23, v24 offset0:36 offset1:52
	ds_store_2addr_b32 v18, v25, v26 offset0:68 offset1:84
	;; [unrolled: 1-line block ×4, first 2 shown]
	s_waitcnt vmcnt(6)
	ds_store_2addr_b32 v18, v7, v8 offset0:164 offset1:180
	s_waitcnt vmcnt(4)
	ds_store_2addr_b32 v18, v9, v10 offset0:196 offset1:212
	;; [unrolled: 2-line block ×4, first 2 shown]
	s_waitcnt lgkmcnt(0)
	s_barrier
	buffer_gl0_inv
	s_and_saveexec_b32 s0, vcc_lo
	s_cbranch_execz .LBB1_4
; %bb.3:
	v_mov_b32_e32 v9, 0
	ds_load_b32 v10, v9 offset:68
	ds_load_2addr_b32 v[7:8], v5 offset1:1
	ds_load_b32 v11, v6
	s_waitcnt lgkmcnt(2)
	v_subrev_nc_u32_e32 v10, s25, v10
	s_waitcnt lgkmcnt(1)
	v_subrev_nc_u32_e32 v8, s25, v8
	s_waitcnt lgkmcnt(0)
	v_add_nc_u32_e32 v7, v11, v7
	s_delay_alu instid0(VALU_DEP_1)
	v_max3_i32 v7, v7, v10, v8
	ds_store_b32 v9, v7 offset:72
.LBB1_4:
	s_or_b32 exec_lo, exec_lo, s0
	v_add_nc_u32_e32 v7, 4, v5
	v_cmp_gt_u32_e64 s0, 2, v0
	s_waitcnt lgkmcnt(0)
	s_barrier
	buffer_gl0_inv
	s_and_saveexec_b32 s1, s0
	s_cbranch_execz .LBB1_6
; %bb.5:
	v_sub_nc_u32_e32 v8, 1, v0
	s_delay_alu instid0(VALU_DEP_1) | instskip(SKIP_1) | instid1(VALU_DEP_2)
	v_mul_u32_u24_e32 v9, 17, v8
	v_lshl_or_b32 v12, v8, 6, v5
	v_lshlrev_b32_e32 v10, 2, v9
	s_delay_alu instid0(VALU_DEP_1)
	v_add_nc_u32_e32 v11, v5, v10
	ds_load_2addr_b32 v[8:9], v11 offset1:1
	ds_load_b32 v12, v12 offset:1168
	ds_load_b32 v11, v11 offset:68
	s_waitcnt lgkmcnt(2)
	v_subrev_nc_u32_e32 v9, s25, v9
	s_waitcnt lgkmcnt(1)
	v_add_nc_u32_e32 v8, v12, v8
	s_waitcnt lgkmcnt(0)
	v_subrev_nc_u32_e32 v11, s25, v11
	s_delay_alu instid0(VALU_DEP_1)
	v_max3_i32 v8, v8, v11, v9
	v_add_nc_u32_e32 v9, v7, v10
	ds_store_b32 v9, v8 offset:68
.LBB1_6:
	s_or_b32 exec_lo, exec_lo, s1
	v_cmp_gt_u32_e64 s1, 3, v0
	s_waitcnt lgkmcnt(0)
	s_barrier
	buffer_gl0_inv
	s_and_saveexec_b32 s2, s1
	s_cbranch_execz .LBB1_8
; %bb.7:
	v_sub_nc_u32_e32 v8, 2, v0
	s_delay_alu instid0(VALU_DEP_1) | instskip(SKIP_1) | instid1(VALU_DEP_2)
	v_mul_u32_u24_e32 v9, 17, v8
	v_lshl_or_b32 v12, v8, 6, v5
	v_lshlrev_b32_e32 v10, 2, v9
	s_delay_alu instid0(VALU_DEP_1)
	v_add_nc_u32_e32 v11, v5, v10
	ds_load_2addr_b32 v[8:9], v11 offset1:1
	ds_load_b32 v12, v12 offset:1168
	ds_load_b32 v11, v11 offset:68
	s_waitcnt lgkmcnt(2)
	v_subrev_nc_u32_e32 v9, s25, v9
	s_waitcnt lgkmcnt(1)
	v_add_nc_u32_e32 v8, v12, v8
	s_waitcnt lgkmcnt(0)
	v_subrev_nc_u32_e32 v11, s25, v11
	s_delay_alu instid0(VALU_DEP_1)
	v_max3_i32 v8, v8, v11, v9
	v_add_nc_u32_e32 v9, v7, v10
	ds_store_b32 v9, v8 offset:68
.LBB1_8:
	s_or_b32 exec_lo, exec_lo, s2
	;; [unrolled: 29-line block ×14, first 2 shown]
	v_sub_nc_u32_e32 v11, 15, v0
	v_cmp_gt_u32_e64 s14, 16, v0
	s_waitcnt lgkmcnt(0)
	s_barrier
	buffer_gl0_inv
	v_mul_i32_i24_e32 v10, 17, v11
	v_lshlrev_b32_e32 v9, 4, v11
	s_delay_alu instid0(VALU_DEP_2) | instskip(SKIP_1) | instid1(SALU_CYCLE_1)
	v_lshlrev_b32_e32 v8, 2, v10
	s_and_saveexec_b32 s15, s14
	s_xor_b32 s14, exec_lo, s15
	s_cbranch_execz .LBB1_34
; %bb.33:
	v_lshlrev_b32_e32 v9, 4, v11
	v_add_nc_u32_e32 v13, v5, v8
	v_add_nc_u32_e32 v7, v7, v8
	s_delay_alu instid0(VALU_DEP_3) | instskip(NEXT) | instid1(VALU_DEP_1)
	v_or_b32_e32 v11, v9, v0
	v_lshlrev_b32_e32 v14, 2, v11
	ds_load_2addr_b32 v[11:12], v13 offset1:1
	ds_load_b32 v14, v14 offset:1168
	ds_load_b32 v13, v13 offset:68
	s_waitcnt lgkmcnt(2)
	v_subrev_nc_u32_e32 v12, s25, v12
	s_waitcnt lgkmcnt(1)
	v_add_nc_u32_e32 v11, v14, v11
	s_waitcnt lgkmcnt(0)
	v_subrev_nc_u32_e32 v13, s25, v13
	s_delay_alu instid0(VALU_DEP_1)
	v_max3_i32 v11, v11, v13, v12
	ds_store_b32 v7, v11 offset:68
.LBB1_34:
	s_and_not1_saveexec_b32 s14, s14
	s_delay_alu instid0(SALU_CYCLE_1)
	s_or_b32 exec_lo, exec_lo, s14
	v_sub_nc_u32_e32 v0, 16, v0
	v_lshl_add_u32 v7, v10, 2, v5
	v_lshl_add_u32 v10, v9, 2, v6
	s_waitcnt lgkmcnt(0)
	s_barrier
	v_mul_i32_i24_e32 v0, 17, v0
	buffer_gl0_inv
	v_lshl_add_u32 v6, v0, 2, v5
	s_and_saveexec_b32 s14, s13
	s_cbranch_execz .LBB1_36
; %bb.35:
	ds_load_2addr_b32 v[11:12], v7 offset0:1 offset1:2
	ds_load_b32 v13, v10 offset:4
	ds_load_b32 v14, v6 offset:4
	s_waitcnt lgkmcnt(2)
	v_subrev_nc_u32_e32 v12, s25, v12
	s_waitcnt lgkmcnt(1)
	v_add_nc_u32_e32 v11, v13, v11
	s_waitcnt lgkmcnt(0)
	v_subrev_nc_u32_e32 v13, s25, v14
	s_delay_alu instid0(VALU_DEP_1)
	v_max3_i32 v11, v11, v13, v12
	ds_store_b32 v6, v11 offset:8
.LBB1_36:
	s_or_b32 exec_lo, exec_lo, s14
	s_waitcnt lgkmcnt(0)
	s_barrier
	buffer_gl0_inv
	s_and_saveexec_b32 s13, s12
	s_cbranch_execz .LBB1_38
; %bb.37:
	ds_load_2addr_b32 v[11:12], v7 offset0:2 offset1:3
	ds_load_b32 v13, v10 offset:8
	ds_load_b32 v14, v6 offset:8
	s_waitcnt lgkmcnt(2)
	v_subrev_nc_u32_e32 v12, s25, v12
	s_waitcnt lgkmcnt(1)
	v_add_nc_u32_e32 v11, v13, v11
	s_waitcnt lgkmcnt(0)
	v_subrev_nc_u32_e32 v13, s25, v14
	s_delay_alu instid0(VALU_DEP_1)
	v_max3_i32 v11, v11, v13, v12
	ds_store_b32 v6, v11 offset:12
.LBB1_38:
	s_or_b32 exec_lo, exec_lo, s13
	s_waitcnt lgkmcnt(0)
	s_barrier
	buffer_gl0_inv
	;; [unrolled: 20-line block ×13, first 2 shown]
	s_and_saveexec_b32 s1, s0
	s_cbranch_execz .LBB1_62
; %bb.61:
	ds_load_2addr_b32 v[11:12], v7 offset0:14 offset1:15
	ds_load_b32 v7, v10 offset:56
	ds_load_b32 v10, v6 offset:56
	s_waitcnt lgkmcnt(1)
	v_add_nc_u32_e32 v7, v7, v11
	s_waitcnt lgkmcnt(0)
	v_subrev_nc_u32_e32 v10, s25, v10
	v_subrev_nc_u32_e32 v11, s25, v12
	s_delay_alu instid0(VALU_DEP_1)
	v_max3_i32 v7, v7, v10, v11
	ds_store_b32 v6, v7 offset:60
.LBB1_62:
	s_or_b32 exec_lo, exec_lo, s1
	s_waitcnt lgkmcnt(0)
	s_barrier
	buffer_gl0_inv
	s_and_saveexec_b32 s0, vcc_lo
	s_cbranch_execz .LBB1_64
; %bb.63:
	v_dual_mov_b32 v10, 0 :: v_dual_lshlrev_b32 v9, 2, v9
	v_lshlrev_b32_e32 v0, 2, v0
	ds_load_2addr_b32 v[6:7], v8 offset0:15 offset1:16
	ds_load_b32 v8, v9 offset:1228
	ds_load_b32 v9, v10 offset:1148
	s_waitcnt lgkmcnt(2)
	v_subrev_nc_u32_e32 v7, s25, v7
	s_waitcnt lgkmcnt(1)
	v_add_nc_u32_e32 v6, v8, v6
	s_waitcnt lgkmcnt(0)
	v_subrev_nc_u32_e32 v8, s25, v9
	s_delay_alu instid0(VALU_DEP_1)
	v_max3_i32 v6, v6, v8, v7
	ds_store_b32 v0, v6 offset:64
.LBB1_64:
	s_or_b32 exec_lo, exec_lo, s0
	v_add_co_u32 v6, vcc_lo, s26, v1
	v_add_co_ci_u32_e32 v7, vcc_lo, s27, v2, vcc_lo
	v_add_co_u32 v8, vcc_lo, s28, v1
	v_add_co_ci_u32_e32 v9, vcc_lo, s29, v2, vcc_lo
	;; [unrolled: 2-line block ×11, first 2 shown]
	v_add_co_u32 v28, vcc_lo, s50, v1
	s_waitcnt lgkmcnt(0)
	s_barrier
	buffer_gl0_inv
	ds_load_2addr_b32 v[30:31], v5 offset0:18 offset1:35
	ds_load_2addr_b32 v[34:35], v5 offset0:52 offset1:69
	v_add_co_ci_u32_e32 v29, vcc_lo, s51, v2, vcc_lo
	v_add_co_u32 v32, vcc_lo, s48, v1
	v_add_co_ci_u32_e32 v33, vcc_lo, s49, v2, vcc_lo
	v_add_co_u32 v3, vcc_lo, v3, s20
	v_add_co_ci_u32_e32 v4, vcc_lo, s21, v4, vcc_lo
	v_lshlrev_b64 v[6:7], 2, v[6:7]
	s_delay_alu instid0(VALU_DEP_3) | instskip(NEXT) | instid1(VALU_DEP_3)
	v_add_co_u32 v36, vcc_lo, v3, s20
	v_add_co_ci_u32_e32 v37, vcc_lo, s21, v4, vcc_lo
	s_waitcnt lgkmcnt(1)
	s_clause 0x1
	global_store_b32 v[3:4], v30, off offset:4
	global_store_b32 v[36:37], v31, off offset:4
	v_add_co_u32 v6, vcc_lo, s16, v6
	v_add_co_ci_u32_e32 v7, vcc_lo, s17, v7, vcc_lo
	v_add_co_u32 v0, vcc_lo, s22, v1
	v_add_co_ci_u32_e32 v1, vcc_lo, s23, v2, vcc_lo
	s_waitcnt lgkmcnt(0)
	global_store_b32 v[6:7], v34, off offset:4
	ds_load_2addr_b32 v[6:7], v5 offset0:86 offset1:103
	v_lshlrev_b64 v[2:3], 2, v[8:9]
	v_lshlrev_b64 v[8:9], 2, v[10:11]
	ds_load_2addr_b32 v[10:11], v5 offset0:120 offset1:137
	v_lshlrev_b64 v[12:13], 2, v[12:13]
	v_lshlrev_b64 v[14:15], 2, v[14:15]
	;; [unrolled: 1-line block ×3, first 2 shown]
	v_add_co_u32 v2, vcc_lo, s16, v2
	v_add_co_ci_u32_e32 v3, vcc_lo, s17, v3, vcc_lo
	v_add_co_u32 v8, vcc_lo, s16, v8
	v_add_co_ci_u32_e32 v9, vcc_lo, s17, v9, vcc_lo
	;; [unrolled: 2-line block ×3, first 2 shown]
	v_add_co_u32 v14, vcc_lo, s16, v14
	global_store_b32 v[2:3], v35, off offset:4
	s_waitcnt lgkmcnt(1)
	s_clause 0x1
	global_store_b32 v[8:9], v6, off offset:4
	global_store_b32 v[12:13], v7, off offset:4
	v_lshlrev_b64 v[2:3], 2, v[16:17]
	v_add_co_ci_u32_e32 v15, vcc_lo, s17, v15, vcc_lo
	ds_load_2addr_b32 v[6:7], v5 offset0:154 offset1:171
	ds_load_2addr_b32 v[12:13], v5 offset0:188 offset1:205
	v_lshlrev_b64 v[8:9], 2, v[18:19]
	s_waitcnt lgkmcnt(2)
	global_store_b32 v[14:15], v10, off offset:4
	v_add_co_u32 v2, vcc_lo, s16, v2
	v_lshlrev_b64 v[14:15], 2, v[20:21]
	v_add_co_ci_u32_e32 v3, vcc_lo, s17, v3, vcc_lo
	v_add_co_u32 v8, vcc_lo, s16, v8
	v_lshlrev_b64 v[16:17], 2, v[22:23]
	v_add_co_ci_u32_e32 v9, vcc_lo, s17, v9, vcc_lo
	v_add_co_u32 v14, vcc_lo, s16, v14
	v_add_co_ci_u32_e32 v15, vcc_lo, s17, v15, vcc_lo
	s_delay_alu instid0(VALU_DEP_4)
	v_add_co_u32 v16, vcc_lo, s16, v16
	v_add_co_ci_u32_e32 v17, vcc_lo, s17, v17, vcc_lo
	v_add_nc_u32_e32 v10, 0x400, v5
	global_store_b32 v[2:3], v11, off offset:4
	s_waitcnt lgkmcnt(1)
	global_store_b32 v[8:9], v6, off offset:4
	v_lshlrev_b64 v[2:3], 2, v[24:25]
	global_store_b32 v[14:15], v7, off offset:4
	s_waitcnt lgkmcnt(0)
	global_store_b32 v[16:17], v12, off offset:4
	ds_load_2addr_b32 v[4:5], v5 offset0:222 offset1:239
	v_lshlrev_b64 v[6:7], 2, v[26:27]
	ds_load_2addr_b32 v[10:11], v10 offset1:17
	v_lshlrev_b64 v[8:9], 2, v[28:29]
	v_add_co_u32 v2, vcc_lo, s16, v2
	v_add_co_ci_u32_e32 v3, vcc_lo, s17, v3, vcc_lo
	v_add_co_u32 v6, vcc_lo, s16, v6
	v_lshlrev_b64 v[14:15], 2, v[32:33]
	v_add_co_ci_u32_e32 v7, vcc_lo, s17, v7, vcc_lo
	v_add_co_u32 v8, vcc_lo, s16, v8
	v_add_co_ci_u32_e32 v9, vcc_lo, s17, v9, vcc_lo
	s_delay_alu instid0(VALU_DEP_4)
	v_add_co_u32 v14, vcc_lo, s16, v14
	v_add_co_ci_u32_e32 v15, vcc_lo, s17, v15, vcc_lo
	v_add_co_u32 v0, vcc_lo, s16, v0
	v_add_co_ci_u32_e32 v1, vcc_lo, s17, v1, vcc_lo
	global_store_b32 v[2:3], v13, off offset:4
	s_waitcnt lgkmcnt(1)
	s_clause 0x1
	global_store_b32 v[6:7], v4, off offset:4
	global_store_b32 v[8:9], v5, off offset:4
	s_waitcnt lgkmcnt(0)
	s_clause 0x1
	global_store_b32 v[14:15], v10, off offset:4
	global_store_b32 v[0:1], v11, off offset:4
	s_nop 0
	s_sendmsg sendmsg(MSG_DEALLOC_VGPRS)
	s_endpgm
	.section	.rodata,"a",@progbits
	.p2align	6, 0x0
	.amdhsa_kernel _Z7kernel2PiPKiiiiiii
		.amdhsa_group_segment_fixed_size 2192
		.amdhsa_private_segment_fixed_size 0
		.amdhsa_kernarg_size 40
		.amdhsa_user_sgpr_count 15
		.amdhsa_user_sgpr_dispatch_ptr 0
		.amdhsa_user_sgpr_queue_ptr 0
		.amdhsa_user_sgpr_kernarg_segment_ptr 1
		.amdhsa_user_sgpr_dispatch_id 0
		.amdhsa_user_sgpr_private_segment_size 0
		.amdhsa_wavefront_size32 1
		.amdhsa_uses_dynamic_stack 0
		.amdhsa_enable_private_segment 0
		.amdhsa_system_sgpr_workgroup_id_x 1
		.amdhsa_system_sgpr_workgroup_id_y 0
		.amdhsa_system_sgpr_workgroup_id_z 0
		.amdhsa_system_sgpr_workgroup_info 0
		.amdhsa_system_vgpr_workitem_id 0
		.amdhsa_next_free_vgpr 38
		.amdhsa_next_free_sgpr 52
		.amdhsa_reserve_vcc 1
		.amdhsa_float_round_mode_32 0
		.amdhsa_float_round_mode_16_64 0
		.amdhsa_float_denorm_mode_32 3
		.amdhsa_float_denorm_mode_16_64 3
		.amdhsa_dx10_clamp 1
		.amdhsa_ieee_mode 1
		.amdhsa_fp16_overflow 0
		.amdhsa_workgroup_processor_mode 1
		.amdhsa_memory_ordered 1
		.amdhsa_forward_progress 0
		.amdhsa_shared_vgpr_count 0
		.amdhsa_exception_fp_ieee_invalid_op 0
		.amdhsa_exception_fp_denorm_src 0
		.amdhsa_exception_fp_ieee_div_zero 0
		.amdhsa_exception_fp_ieee_overflow 0
		.amdhsa_exception_fp_ieee_underflow 0
		.amdhsa_exception_fp_ieee_inexact 0
		.amdhsa_exception_int_div_zero 0
	.end_amdhsa_kernel
	.text
.Lfunc_end1:
	.size	_Z7kernel2PiPKiiiiiii, .Lfunc_end1-_Z7kernel2PiPKiiiiiii
                                        ; -- End function
	.section	.AMDGPU.csdata,"",@progbits
; Kernel info:
; codeLenInByte = 5464
; NumSgprs: 54
; NumVgprs: 38
; ScratchSize: 0
; MemoryBound: 0
; FloatMode: 240
; IeeeMode: 1
; LDSByteSize: 2192 bytes/workgroup (compile time only)
; SGPRBlocks: 6
; VGPRBlocks: 4
; NumSGPRsForWavesPerEU: 54
; NumVGPRsForWavesPerEU: 38
; Occupancy: 16
; WaveLimiterHint : 0
; COMPUTE_PGM_RSRC2:SCRATCH_EN: 0
; COMPUTE_PGM_RSRC2:USER_SGPR: 15
; COMPUTE_PGM_RSRC2:TRAP_HANDLER: 0
; COMPUTE_PGM_RSRC2:TGID_X_EN: 1
; COMPUTE_PGM_RSRC2:TGID_Y_EN: 0
; COMPUTE_PGM_RSRC2:TGID_Z_EN: 0
; COMPUTE_PGM_RSRC2:TIDIG_COMP_CNT: 0
	.text
	.p2alignl 7, 3214868480
	.fill 96, 4, 3214868480
	.type	__hip_cuid_279795d7bac205c6,@object ; @__hip_cuid_279795d7bac205c6
	.section	.bss,"aw",@nobits
	.globl	__hip_cuid_279795d7bac205c6
__hip_cuid_279795d7bac205c6:
	.byte	0                               ; 0x0
	.size	__hip_cuid_279795d7bac205c6, 1

	.ident	"AMD clang version 19.0.0git (https://github.com/RadeonOpenCompute/llvm-project roc-6.4.0 25133 c7fe45cf4b819c5991fe208aaa96edf142730f1d)"
	.section	".note.GNU-stack","",@progbits
	.addrsig
	.addrsig_sym __hip_cuid_279795d7bac205c6
	.amdgpu_metadata
---
amdhsa.kernels:
  - .args:
      - .address_space:  global
        .offset:         0
        .size:           8
        .value_kind:     global_buffer
      - .actual_access:  read_only
        .address_space:  global
        .offset:         8
        .size:           8
        .value_kind:     global_buffer
      - .offset:         16
        .size:           4
        .value_kind:     by_value
      - .offset:         20
        .size:           4
        .value_kind:     by_value
      - .offset:         24
        .size:           4
        .value_kind:     by_value
      - .offset:         28
        .size:           4
        .value_kind:     by_value
      - .offset:         32
        .size:           4
        .value_kind:     by_value
    .group_segment_fixed_size: 2192
    .kernarg_segment_align: 8
    .kernarg_segment_size: 36
    .language:       OpenCL C
    .language_version:
      - 2
      - 0
    .max_flat_workgroup_size: 1024
    .name:           _Z7kernel1PiPKiiiiii
    .private_segment_fixed_size: 0
    .sgpr_count:     52
    .sgpr_spill_count: 0
    .symbol:         _Z7kernel1PiPKiiiiii.kd
    .uniform_work_group_size: 1
    .uses_dynamic_stack: false
    .vgpr_count:     38
    .vgpr_spill_count: 0
    .wavefront_size: 32
    .workgroup_processor_mode: 1
  - .args:
      - .address_space:  global
        .offset:         0
        .size:           8
        .value_kind:     global_buffer
      - .actual_access:  read_only
        .address_space:  global
        .offset:         8
        .size:           8
        .value_kind:     global_buffer
      - .offset:         16
        .size:           4
        .value_kind:     by_value
      - .offset:         20
        .size:           4
        .value_kind:     by_value
      - .offset:         24
        .size:           4
        .value_kind:     by_value
      - .offset:         28
        .size:           4
        .value_kind:     by_value
      - .offset:         32
        .size:           4
        .value_kind:     by_value
      - .offset:         36
        .size:           4
        .value_kind:     by_value
    .group_segment_fixed_size: 2192
    .kernarg_segment_align: 8
    .kernarg_segment_size: 40
    .language:       OpenCL C
    .language_version:
      - 2
      - 0
    .max_flat_workgroup_size: 1024
    .name:           _Z7kernel2PiPKiiiiiii
    .private_segment_fixed_size: 0
    .sgpr_count:     54
    .sgpr_spill_count: 0
    .symbol:         _Z7kernel2PiPKiiiiiii.kd
    .uniform_work_group_size: 1
    .uses_dynamic_stack: false
    .vgpr_count:     38
    .vgpr_spill_count: 0
    .wavefront_size: 32
    .workgroup_processor_mode: 1
amdhsa.target:   amdgcn-amd-amdhsa--gfx1100
amdhsa.version:
  - 1
  - 2
...

	.end_amdgpu_metadata
